;; amdgpu-corpus repo=zjin-lcf/HeCBench kind=compiled arch=gfx90a opt=O3
	.text
	.amdgcn_target "amdgcn-amd-amdhsa--gfx90a"
	.amdhsa_code_object_version 6
	.protected	_Z15checkDuplicatesiPKi ; -- Begin function _Z15checkDuplicatesiPKi
	.globl	_Z15checkDuplicatesiPKi
	.p2align	8
	.type	_Z15checkDuplicatesiPKi,@function
_Z15checkDuplicatesiPKi:                ; @_Z15checkDuplicatesiPKi
; %bb.0:
	s_load_dwordx2 s[0:1], s[4:5], 0x8
	v_lshlrev_b32_e32 v1, 2, v0
	v_mbcnt_lo_u32_b32 v3, -1, 0
	v_mbcnt_hi_u32_b32 v3, -1, v3
	v_and_b32_e32 v8, 0x60, v3
	s_waitcnt lgkmcnt(0)
	global_load_dword v2, v1, s[0:1]
	v_xor_b32_e32 v7, 1, v3
	v_add_u32_e32 v8, 32, v8
	v_cmp_lt_i32_e32 vcc, v7, v8
	v_cndmask_b32_e32 v7, v3, v7, vcc
	v_lshlrev_b32_e32 v7, 2, v7
	v_xor_b32_e32 v10, 2, v3
	v_cmp_lt_i32_e32 vcc, v10, v8
	v_bfe_u32 v4, v0, 1, 1
	v_and_b32_e32 v5, 1, v0
	v_cndmask_b32_e32 v10, v3, v10, vcc
	v_xor_b32_e32 v6, v4, v5
	v_lshlrev_b32_e32 v10, 2, v10
	s_waitcnt vmcnt(0)
	ds_bpermute_b32 v9, v7, v2
	s_waitcnt lgkmcnt(0)
	v_cmp_gt_i32_e32 vcc, v9, v2
	v_cndmask_b32_e64 v11, 0, 1, vcc
	v_cmp_eq_u32_e32 vcc, v6, v11
	v_cndmask_b32_e32 v2, v2, v9, vcc
	ds_bpermute_b32 v6, v10, v2
	v_bfe_u32 v9, v0, 2, 1
	v_xor_b32_e32 v11, v9, v4
	v_xor_b32_e32 v12, v9, v5
	s_waitcnt lgkmcnt(0)
	v_cmp_gt_i32_e32 vcc, v6, v2
	v_cndmask_b32_e64 v13, 0, 1, vcc
	v_cmp_eq_u32_e32 vcc, v11, v13
	v_cndmask_b32_e32 v2, v2, v6, vcc
	ds_bpermute_b32 v6, v7, v2
	v_xor_b32_e32 v11, 4, v3
	v_cmp_lt_i32_e32 vcc, v11, v8
	v_cndmask_b32_e32 v11, v3, v11, vcc
	v_lshlrev_b32_e32 v11, 2, v11
	s_waitcnt lgkmcnt(0)
	v_cmp_gt_i32_e32 vcc, v6, v2
	v_cndmask_b32_e64 v13, 0, 1, vcc
	v_cmp_eq_u32_e32 vcc, v12, v13
	v_cndmask_b32_e32 v2, v2, v6, vcc
	ds_bpermute_b32 v6, v11, v2
	v_bfe_u32 v12, v0, 3, 1
	v_xor_b32_e32 v13, v12, v9
	s_waitcnt lgkmcnt(0)
	v_cmp_gt_i32_e32 vcc, v6, v2
	v_cndmask_b32_e64 v14, 0, 1, vcc
	v_cmp_eq_u32_e32 vcc, v13, v14
	v_cndmask_b32_e32 v2, v2, v6, vcc
	ds_bpermute_b32 v6, v10, v2
	v_xor_b32_e32 v13, v12, v4
	v_xor_b32_e32 v14, v12, v5
	s_waitcnt lgkmcnt(0)
	v_cmp_gt_i32_e32 vcc, v6, v2
	v_cndmask_b32_e64 v15, 0, 1, vcc
	v_cmp_eq_u32_e32 vcc, v13, v15
	v_cndmask_b32_e32 v2, v2, v6, vcc
	ds_bpermute_b32 v6, v7, v2
	v_xor_b32_e32 v13, 8, v3
	v_cmp_lt_i32_e32 vcc, v13, v8
	v_cndmask_b32_e32 v13, v3, v13, vcc
	v_lshlrev_b32_e32 v13, 2, v13
	s_waitcnt lgkmcnt(0)
	v_cmp_gt_i32_e32 vcc, v6, v2
	v_cndmask_b32_e64 v15, 0, 1, vcc
	v_cmp_eq_u32_e32 vcc, v14, v15
	v_cndmask_b32_e32 v2, v2, v6, vcc
	ds_bpermute_b32 v6, v13, v2
	v_bfe_u32 v14, v0, 4, 1
	v_xor_b32_e32 v12, v14, v12
	v_xor_b32_e32 v9, v14, v9
	;; [unrolled: 1-line block ×3, first 2 shown]
	s_waitcnt lgkmcnt(0)
	v_cmp_gt_i32_e32 vcc, v6, v2
	v_cndmask_b32_e64 v15, 0, 1, vcc
	v_cmp_eq_u32_e32 vcc, v12, v15
	v_cndmask_b32_e32 v2, v2, v6, vcc
	ds_bpermute_b32 v6, v11, v2
	s_waitcnt lgkmcnt(0)
	v_cmp_gt_i32_e32 vcc, v6, v2
	v_cndmask_b32_e64 v12, 0, 1, vcc
	v_cmp_eq_u32_e32 vcc, v9, v12
	v_cndmask_b32_e32 v2, v2, v6, vcc
	ds_bpermute_b32 v6, v10, v2
	v_xor_b32_e32 v9, v14, v5
	s_waitcnt lgkmcnt(0)
	v_cmp_gt_i32_e32 vcc, v6, v2
	v_cndmask_b32_e64 v12, 0, 1, vcc
	v_cmp_eq_u32_e32 vcc, v4, v12
	v_cndmask_b32_e32 v2, v2, v6, vcc
	ds_bpermute_b32 v4, v7, v2
	v_xor_b32_e32 v6, 16, v3
	v_cmp_lt_i32_e32 vcc, v6, v8
	v_cndmask_b32_e32 v6, v3, v6, vcc
	v_lshlrev_b32_e32 v6, 2, v6
	s_waitcnt lgkmcnt(0)
	v_cmp_gt_i32_e32 vcc, v4, v2
	v_cndmask_b32_e64 v8, 0, 1, vcc
	v_cmp_eq_u32_e32 vcc, v9, v8
	v_cndmask_b32_e32 v2, v2, v4, vcc
	ds_bpermute_b32 v4, v6, v2
	v_and_b32_e32 v6, 16, v0
	v_cmp_ne_u32_e32 vcc, 0, v6
	v_and_b32_e32 v6, 8, v0
	s_waitcnt lgkmcnt(0)
	v_cmp_le_i32_e64 s[0:1], v4, v2
	s_xor_b64 vcc, s[0:1], vcc
	v_cndmask_b32_e32 v2, v2, v4, vcc
	ds_bpermute_b32 v4, v13, v2
	v_cmp_ne_u32_e32 vcc, 0, v6
	v_and_b32_e32 v6, 4, v0
	s_waitcnt lgkmcnt(0)
	v_cmp_le_i32_e64 s[0:1], v4, v2
	s_xor_b64 vcc, s[0:1], vcc
	v_cndmask_b32_e32 v2, v2, v4, vcc
	ds_bpermute_b32 v4, v11, v2
	v_cmp_ne_u32_e32 vcc, 0, v6
	v_and_b32_e32 v6, 2, v0
	v_and_b32_e32 v0, 31, v0
	s_waitcnt lgkmcnt(0)
	v_cmp_le_i32_e64 s[0:1], v4, v2
	s_xor_b64 vcc, s[0:1], vcc
	v_cndmask_b32_e32 v2, v2, v4, vcc
	ds_bpermute_b32 v4, v10, v2
	v_cmp_ne_u32_e32 vcc, 0, v6
	v_cmp_eq_u32_e64 s[0:1], 1, v5
	v_add_u32_e32 v5, -1, v3
	v_and_b32_e32 v6, 64, v3
	s_waitcnt lgkmcnt(0)
	v_cmp_le_i32_e64 s[2:3], v4, v2
	s_xor_b64 vcc, s[2:3], vcc
	v_cndmask_b32_e32 v2, v2, v4, vcc
	ds_bpermute_b32 v4, v7, v2
	v_cmp_lt_i32_e32 vcc, v5, v6
	v_cndmask_b32_e32 v3, v5, v3, vcc
	v_lshlrev_b32_e32 v3, 2, v3
	s_waitcnt lgkmcnt(0)
	v_cmp_le_i32_e32 vcc, v4, v2
	s_xor_b64 vcc, vcc, s[0:1]
	v_cndmask_b32_e32 v2, v2, v4, vcc
	ds_bpermute_b32 v3, v3, v2
	v_cmp_ne_u32_e32 vcc, 0, v0
	s_waitcnt lgkmcnt(0)
	v_cmp_eq_u32_e64 s[0:1], v3, v2
	s_and_b64 s[0:1], vcc, s[0:1]
	v_cndmask_b32_e64 v0, 0, 1, s[0:1]
	;;#ASMSTART
	;;#ASMEND
	v_cmp_ne_u32_e32 vcc, 0, v0
	s_cmp_lg_u64 vcc, 0
	s_cselect_b64 s[0:1], -1, 0
	v_cndmask_b32_e64 v0, 0, 1, s[0:1]
	s_getpc_b64 s[0:1]
	s_add_u32 s0, s0, hasDuplicate@rel32@lo+4
	s_addc_u32 s1, s1, hasDuplicate@rel32@hi+12
	global_store_dword v1, v0, s[0:1]
	s_endpgm
	.section	.rodata,"a",@progbits
	.p2align	6, 0x0
	.amdhsa_kernel _Z15checkDuplicatesiPKi
		.amdhsa_group_segment_fixed_size 0
		.amdhsa_private_segment_fixed_size 0
		.amdhsa_kernarg_size 16
		.amdhsa_user_sgpr_count 6
		.amdhsa_user_sgpr_private_segment_buffer 1
		.amdhsa_user_sgpr_dispatch_ptr 0
		.amdhsa_user_sgpr_queue_ptr 0
		.amdhsa_user_sgpr_kernarg_segment_ptr 1
		.amdhsa_user_sgpr_dispatch_id 0
		.amdhsa_user_sgpr_flat_scratch_init 0
		.amdhsa_user_sgpr_kernarg_preload_length 0
		.amdhsa_user_sgpr_kernarg_preload_offset 0
		.amdhsa_user_sgpr_private_segment_size 0
		.amdhsa_uses_dynamic_stack 0
		.amdhsa_system_sgpr_private_segment_wavefront_offset 0
		.amdhsa_system_sgpr_workgroup_id_x 1
		.amdhsa_system_sgpr_workgroup_id_y 0
		.amdhsa_system_sgpr_workgroup_id_z 0
		.amdhsa_system_sgpr_workgroup_info 0
		.amdhsa_system_vgpr_workitem_id 0
		.amdhsa_next_free_vgpr 16
		.amdhsa_next_free_sgpr 6
		.amdhsa_accum_offset 16
		.amdhsa_reserve_vcc 1
		.amdhsa_reserve_flat_scratch 0
		.amdhsa_float_round_mode_32 0
		.amdhsa_float_round_mode_16_64 0
		.amdhsa_float_denorm_mode_32 3
		.amdhsa_float_denorm_mode_16_64 3
		.amdhsa_dx10_clamp 1
		.amdhsa_ieee_mode 1
		.amdhsa_fp16_overflow 0
		.amdhsa_tg_split 0
		.amdhsa_exception_fp_ieee_invalid_op 0
		.amdhsa_exception_fp_denorm_src 0
		.amdhsa_exception_fp_ieee_div_zero 0
		.amdhsa_exception_fp_ieee_overflow 0
		.amdhsa_exception_fp_ieee_underflow 0
		.amdhsa_exception_fp_ieee_inexact 0
		.amdhsa_exception_int_div_zero 0
	.end_amdhsa_kernel
	.text
.Lfunc_end0:
	.size	_Z15checkDuplicatesiPKi, .Lfunc_end0-_Z15checkDuplicatesiPKi
                                        ; -- End function
	.section	.AMDGPU.csdata,"",@progbits
; Kernel info:
; codeLenInByte = 820
; NumSgprs: 10
; NumVgprs: 16
; NumAgprs: 0
; TotalNumVgprs: 16
; ScratchSize: 0
; MemoryBound: 0
; FloatMode: 240
; IeeeMode: 1
; LDSByteSize: 0 bytes/workgroup (compile time only)
; SGPRBlocks: 1
; VGPRBlocks: 1
; NumSGPRsForWavesPerEU: 10
; NumVGPRsForWavesPerEU: 16
; AccumOffset: 16
; Occupancy: 8
; WaveLimiterHint : 0
; COMPUTE_PGM_RSRC2:SCRATCH_EN: 0
; COMPUTE_PGM_RSRC2:USER_SGPR: 6
; COMPUTE_PGM_RSRC2:TRAP_HANDLER: 0
; COMPUTE_PGM_RSRC2:TGID_X_EN: 1
; COMPUTE_PGM_RSRC2:TGID_Y_EN: 0
; COMPUTE_PGM_RSRC2:TGID_Z_EN: 0
; COMPUTE_PGM_RSRC2:TIDIG_COMP_CNT: 0
; COMPUTE_PGM_RSRC3_GFX90A:ACCUM_OFFSET: 3
; COMPUTE_PGM_RSRC3_GFX90A:TG_SPLIT: 0
	.text
	.protected	_Z18checkDuplicateMaskiPKi ; -- Begin function _Z18checkDuplicateMaskiPKi
	.globl	_Z18checkDuplicateMaskiPKi
	.p2align	8
	.type	_Z18checkDuplicateMaskiPKi,@function
_Z18checkDuplicateMaskiPKi:             ; @_Z18checkDuplicateMaskiPKi
; %bb.0:
	s_load_dwordx2 s[0:1], s[4:5], 0x8
	v_lshlrev_b32_e32 v1, 2, v0
	v_and_b32_e32 v4, 31, v0
	v_bfe_u32 v9, v0, 1, 1
	v_and_b32_e32 v7, 1, v0
	s_waitcnt lgkmcnt(0)
	global_load_dword v3, v1, s[0:1]
	v_mbcnt_lo_u32_b32 v1, -1, 0
	v_mbcnt_hi_u32_b32 v5, -1, v1
	v_and_b32_e32 v2, 0x60, v5
	v_xor_b32_e32 v1, 1, v5
	v_add_u32_e32 v22, 32, v2
	v_cmp_lt_i32_e32 vcc, v1, v22
	v_cndmask_b32_e32 v1, v5, v1, vcc
	v_lshlrev_b32_e32 v1, 2, v1
	ds_bpermute_b32 v8, v1, v4
	v_xor_b32_e32 v6, 2, v5
	v_cmp_lt_i32_e32 vcc, v6, v22
	v_cndmask_b32_e32 v2, v5, v6, vcc
	v_xor_b32_e32 v18, v9, v7
	s_waitcnt lgkmcnt(0)
	v_cmp_lt_i32_e32 vcc, v4, v8
	v_lshlrev_b32_e32 v2, 2, v2
	v_bfe_u32 v11, v0, 2, 1
	v_xor_b32_e32 v13, v11, v9
	v_xor_b32_e32 v15, 4, v5
	;; [unrolled: 1-line block ×3, first 2 shown]
	v_bfe_u32 v12, v0, 3, 1
	v_xor_b32_e32 v17, v12, v11
	v_xor_b32_e32 v24, 8, v5
	v_bfe_u32 v19, v0, 4, 1
	v_and_b32_e32 v20, 16, v0
	v_cmp_ne_u32_e64 s[6:7], 0, v20
	v_and_b32_e32 v21, 8, v0
	v_cmp_ne_u32_e64 s[4:5], 0, v21
	v_and_b32_e32 v26, 4, v0
	s_waitcnt vmcnt(0)
	ds_bpermute_b32 v10, v1, v3
	s_waitcnt lgkmcnt(0)
	v_cmp_eq_u32_e64 s[2:3], v10, v3
	v_cmp_gt_i32_e64 s[0:1], v10, v3
	s_and_b64 s[2:3], s[2:3], vcc
	s_or_b64 s[0:1], s[0:1], s[2:3]
	v_cndmask_b32_e64 v6, 0, 1, s[0:1]
	v_cmp_eq_u32_e32 vcc, v18, v6
	v_cndmask_b32_e32 v3, v3, v10, vcc
	v_cndmask_b32_e32 v8, v4, v8, vcc
	ds_bpermute_b32 v6, v2, v3
	ds_bpermute_b32 v10, v2, v8
	s_waitcnt lgkmcnt(1)
	v_cmp_eq_u32_e64 s[0:1], v3, v6
	s_waitcnt lgkmcnt(0)
	v_cmp_lt_i32_e64 s[2:3], v8, v10
	v_cmp_lt_i32_e32 vcc, v3, v6
	s_and_b64 s[0:1], s[0:1], s[2:3]
	s_or_b64 s[0:1], vcc, s[0:1]
	v_cndmask_b32_e64 v16, 0, 1, s[0:1]
	v_cmp_eq_u32_e32 vcc, v13, v16
	v_cndmask_b32_e32 v6, v3, v6, vcc
	v_cndmask_b32_e32 v8, v8, v10, vcc
	ds_bpermute_b32 v10, v1, v6
	ds_bpermute_b32 v16, v1, v8
	v_cmp_lt_i32_e32 vcc, v15, v22
	v_cndmask_b32_e32 v3, v5, v15, vcc
	v_lshlrev_b32_e32 v3, 2, v3
	s_waitcnt lgkmcnt(1)
	v_cmp_eq_u32_e64 s[0:1], v6, v10
	s_waitcnt lgkmcnt(0)
	v_cmp_lt_i32_e64 s[2:3], v8, v16
	v_cmp_lt_i32_e32 vcc, v6, v10
	s_and_b64 s[0:1], s[0:1], s[2:3]
	s_or_b64 s[0:1], vcc, s[0:1]
	v_cndmask_b32_e64 v15, 0, 1, s[0:1]
	v_cmp_eq_u32_e32 vcc, v14, v15
	v_cndmask_b32_e32 v6, v6, v10, vcc
	v_cndmask_b32_e32 v8, v8, v16, vcc
	ds_bpermute_b32 v15, v3, v6
	ds_bpermute_b32 v16, v3, v8
	v_xor_b32_e32 v10, v12, v9
	s_waitcnt lgkmcnt(1)
	v_cmp_eq_u32_e64 s[0:1], v6, v15
	s_waitcnt lgkmcnt(0)
	v_cmp_lt_i32_e64 s[2:3], v8, v16
	v_cmp_lt_i32_e32 vcc, v6, v15
	s_and_b64 s[0:1], s[0:1], s[2:3]
	s_or_b64 s[0:1], vcc, s[0:1]
	v_cndmask_b32_e64 v23, 0, 1, s[0:1]
	v_cmp_eq_u32_e32 vcc, v17, v23
	v_cndmask_b32_e32 v6, v6, v15, vcc
	v_cndmask_b32_e32 v16, v8, v16, vcc
	ds_bpermute_b32 v15, v2, v6
	ds_bpermute_b32 v23, v2, v16
	v_xor_b32_e32 v8, v12, v7
	s_waitcnt lgkmcnt(1)
	v_cmp_eq_u32_e64 s[0:1], v6, v15
	s_waitcnt lgkmcnt(0)
	v_cmp_lt_i32_e64 s[2:3], v16, v23
	v_cmp_lt_i32_e32 vcc, v6, v15
	s_and_b64 s[0:1], s[0:1], s[2:3]
	s_or_b64 s[0:1], vcc, s[0:1]
	v_cndmask_b32_e64 v25, 0, 1, s[0:1]
	v_cmp_eq_u32_e32 vcc, v10, v25
	v_cndmask_b32_e32 v15, v6, v15, vcc
	v_cndmask_b32_e32 v16, v16, v23, vcc
	ds_bpermute_b32 v23, v1, v15
	ds_bpermute_b32 v25, v1, v16
	v_cmp_lt_i32_e32 vcc, v24, v22
	v_cndmask_b32_e32 v6, v5, v24, vcc
	v_lshlrev_b32_e32 v6, 2, v6
	s_waitcnt lgkmcnt(1)
	v_cmp_eq_u32_e64 s[0:1], v15, v23
	s_waitcnt lgkmcnt(0)
	v_cmp_lt_i32_e64 s[2:3], v16, v25
	v_cmp_lt_i32_e32 vcc, v15, v23
	s_and_b64 s[0:1], s[0:1], s[2:3]
	s_or_b64 s[0:1], vcc, s[0:1]
	v_cndmask_b32_e64 v24, 0, 1, s[0:1]
	v_cmp_eq_u32_e32 vcc, v8, v24
	v_cndmask_b32_e32 v15, v15, v23, vcc
	v_cndmask_b32_e32 v24, v16, v25, vcc
	ds_bpermute_b32 v23, v6, v15
	ds_bpermute_b32 v25, v6, v24
	v_xor_b32_e32 v16, v19, v12
	s_waitcnt lgkmcnt(1)
	v_cmp_eq_u32_e64 s[0:1], v15, v23
	s_waitcnt lgkmcnt(0)
	v_cmp_lt_i32_e64 s[2:3], v24, v25
	v_cmp_lt_i32_e32 vcc, v15, v23
	s_and_b64 s[0:1], s[0:1], s[2:3]
	s_or_b64 s[0:1], vcc, s[0:1]
	v_cndmask_b32_e64 v12, 0, 1, s[0:1]
	v_cmp_eq_u32_e32 vcc, v16, v12
	v_cndmask_b32_e32 v12, v15, v23, vcc
	v_cndmask_b32_e32 v24, v24, v25, vcc
	ds_bpermute_b32 v23, v3, v12
	ds_bpermute_b32 v25, v3, v24
	v_xor_b32_e32 v15, v19, v11
	v_xor_b32_e32 v11, v19, v9
	s_waitcnt lgkmcnt(1)
	v_cmp_eq_u32_e64 s[0:1], v12, v23
	s_waitcnt lgkmcnt(0)
	v_cmp_lt_i32_e64 s[2:3], v24, v25
	v_cmp_lt_i32_e32 vcc, v12, v23
	s_and_b64 s[0:1], s[0:1], s[2:3]
	s_or_b64 s[0:1], vcc, s[0:1]
	v_cndmask_b32_e64 v9, 0, 1, s[0:1]
	v_cmp_eq_u32_e32 vcc, v15, v9
	v_cndmask_b32_e32 v12, v12, v23, vcc
	v_cndmask_b32_e32 v24, v24, v25, vcc
	ds_bpermute_b32 v23, v2, v12
	ds_bpermute_b32 v25, v2, v24
	v_xor_b32_e32 v9, v19, v7
	v_xor_b32_e32 v19, 16, v5
	s_waitcnt lgkmcnt(1)
	v_cmp_eq_u32_e64 s[0:1], v12, v23
	s_waitcnt lgkmcnt(0)
	v_cmp_lt_i32_e64 s[2:3], v24, v25
	v_cmp_lt_i32_e32 vcc, v12, v23
	s_and_b64 s[0:1], s[0:1], s[2:3]
	s_or_b64 s[0:1], vcc, s[0:1]
	v_cndmask_b32_e64 v27, 0, 1, s[0:1]
	v_cmp_eq_u32_e32 vcc, v11, v27
	v_cndmask_b32_e32 v23, v12, v23, vcc
	v_cndmask_b32_e32 v24, v24, v25, vcc
	ds_bpermute_b32 v25, v1, v23
	ds_bpermute_b32 v27, v1, v24
	v_cmp_lt_i32_e32 vcc, v19, v22
	v_cndmask_b32_e32 v12, v5, v19, vcc
	v_lshlrev_b32_e32 v12, 2, v12
	s_waitcnt lgkmcnt(1)
	v_cmp_eq_u32_e64 s[0:1], v23, v25
	s_waitcnt lgkmcnt(0)
	v_cmp_lt_i32_e64 s[2:3], v24, v27
	v_cmp_lt_i32_e32 vcc, v23, v25
	s_and_b64 s[0:1], s[0:1], s[2:3]
	s_or_b64 s[0:1], vcc, s[0:1]
	v_cndmask_b32_e64 v19, 0, 1, s[0:1]
	v_cmp_eq_u32_e32 vcc, v9, v19
	v_cndmask_b32_e32 v19, v23, v25, vcc
	v_cndmask_b32_e32 v23, v24, v27, vcc
	ds_bpermute_b32 v22, v12, v19
	ds_bpermute_b32 v24, v12, v23
	v_and_b32_e32 v25, 2, v0
	s_waitcnt lgkmcnt(1)
	v_cmp_ne_u32_e64 s[0:1], v19, v22
	s_waitcnt lgkmcnt(0)
	v_cmp_ge_i32_e64 s[2:3], v23, v24
	v_cmp_ge_i32_e32 vcc, v19, v22
	s_or_b64 s[0:1], s[0:1], s[2:3]
	s_and_b64 s[0:1], vcc, s[0:1]
	s_xor_b64 vcc, s[0:1], s[6:7]
	v_cndmask_b32_e32 v19, v19, v22, vcc
	v_cndmask_b32_e32 v22, v23, v24, vcc
	ds_bpermute_b32 v20, v6, v19
	ds_bpermute_b32 v23, v6, v22
	v_cmp_ne_u32_e64 s[2:3], 0, v26
	s_waitcnt lgkmcnt(1)
	v_cmp_ne_u32_e64 s[0:1], v19, v20
	s_waitcnt lgkmcnt(0)
	v_cmp_ge_i32_e64 s[8:9], v22, v23
	v_cmp_ge_i32_e32 vcc, v19, v20
	s_or_b64 s[0:1], s[0:1], s[8:9]
	s_and_b64 s[0:1], vcc, s[0:1]
	s_xor_b64 vcc, s[0:1], s[4:5]
	v_cndmask_b32_e32 v19, v19, v20, vcc
	v_cndmask_b32_e32 v21, v22, v23, vcc
	ds_bpermute_b32 v20, v3, v19
	ds_bpermute_b32 v22, v3, v21
	v_cmp_eq_u32_e32 vcc, 1, v7
	v_cmp_ne_u32_e64 s[0:1], 0, v25
	v_and_b32_e32 v23, 64, v5
	s_waitcnt lgkmcnt(1)
	v_cmp_ne_u32_e64 s[10:11], v19, v20
	s_waitcnt lgkmcnt(0)
	v_cmp_ge_i32_e64 s[12:13], v21, v22
	v_cmp_ge_i32_e64 s[8:9], v19, v20
	s_or_b64 s[10:11], s[10:11], s[12:13]
	s_and_b64 s[8:9], s[8:9], s[10:11]
	s_xor_b64 s[8:9], s[8:9], s[2:3]
	v_cndmask_b32_e64 v7, v19, v20, s[8:9]
	v_cndmask_b32_e64 v20, v21, v22, s[8:9]
	ds_bpermute_b32 v19, v2, v7
	ds_bpermute_b32 v21, v2, v20
	v_add_u32_e32 v22, -1, v5
	s_waitcnt lgkmcnt(1)
	v_cmp_ne_u32_e64 s[10:11], v7, v19
	s_waitcnt lgkmcnt(0)
	v_cmp_ge_i32_e64 s[12:13], v20, v21
	v_cmp_ge_i32_e64 s[8:9], v7, v19
	s_or_b64 s[10:11], s[10:11], s[12:13]
	s_and_b64 s[8:9], s[8:9], s[10:11]
	s_xor_b64 s[8:9], s[8:9], s[0:1]
	v_cndmask_b32_e64 v7, v7, v19, s[8:9]
	v_cndmask_b32_e64 v19, v20, v21, s[8:9]
	ds_bpermute_b32 v20, v1, v7
	ds_bpermute_b32 v21, v1, v19
	v_cmp_lt_i32_e64 s[8:9], v22, v23
	v_cndmask_b32_e64 v5, v22, v5, s[8:9]
	v_lshlrev_b32_e32 v5, 2, v5
	s_waitcnt lgkmcnt(1)
	v_cmp_ne_u32_e64 s[10:11], v7, v20
	s_waitcnt lgkmcnt(0)
	v_cmp_ge_i32_e64 s[12:13], v19, v21
	v_cmp_ge_i32_e64 s[8:9], v7, v20
	s_or_b64 s[10:11], s[10:11], s[12:13]
	s_and_b64 s[8:9], s[8:9], s[10:11]
	s_xor_b64 s[8:9], s[8:9], vcc
	v_cndmask_b32_e64 v7, v7, v20, s[8:9]
	ds_bpermute_b32 v5, v5, v7
	v_cmp_ne_u32_e64 s[10:11], 0, v4
	v_cndmask_b32_e64 v4, v19, v21, s[8:9]
	ds_bpermute_b32 v19, v1, v4
	s_waitcnt lgkmcnt(1)
	v_cmp_eq_u32_e64 s[8:9], v5, v7
	s_and_b64 s[12:13], s[10:11], s[8:9]
	v_cndmask_b32_e64 v5, 0, 1, s[12:13]
	ds_bpermute_b32 v7, v1, v5
	s_waitcnt lgkmcnt(1)
	v_cmp_eq_u32_e64 s[10:11], v4, v19
	s_xor_b64 s[12:13], s[12:13], -1
	s_and_b64 s[12:13], s[10:11], s[12:13]
	v_cmp_lt_i32_e64 s[8:9], v4, v19
	s_waitcnt lgkmcnt(0)
	v_cmp_ne_u32_e64 s[10:11], 0, v7
	v_cndmask_b32_e64 v7, 0, 1, s[10:11]
	s_and_b64 s[10:11], s[10:11], s[12:13]
	s_or_b64 s[8:9], s[8:9], s[10:11]
	v_cndmask_b32_e64 v20, 0, 1, s[8:9]
	v_cmp_eq_u32_e64 s[8:9], v18, v20
	v_cndmask_b32_e64 v4, v4, v19, s[8:9]
	v_cndmask_b32_e64 v5, v5, v7, s[8:9]
	ds_bpermute_b32 v18, v2, v4
	v_and_b32_e32 v7, 0xff, v5
	ds_bpermute_b32 v19, v2, v7
	v_cmp_eq_u32_e64 s[8:9], 0, v7
	s_waitcnt lgkmcnt(1)
	v_cmp_eq_u32_e64 s[12:13], v4, v18
	s_and_b64 s[12:13], s[12:13], s[8:9]
	s_waitcnt lgkmcnt(0)
	v_cmp_ne_u32_e64 s[8:9], 0, v19
	v_cmp_lt_i32_e64 s[10:11], v4, v18
	v_cndmask_b32_e64 v7, 0, 1, s[8:9]
	s_and_b64 s[8:9], s[8:9], s[12:13]
	s_or_b64 s[8:9], s[10:11], s[8:9]
	v_cndmask_b32_e64 v19, 0, 1, s[8:9]
	v_cmp_eq_u32_e64 s[8:9], v13, v19
	v_cndmask_b32_e64 v4, v4, v18, s[8:9]
	v_cndmask_b32_e64 v5, v5, v7, s[8:9]
	ds_bpermute_b32 v13, v1, v4
	v_and_b32_e32 v5, 0xff, v5
	ds_bpermute_b32 v7, v1, v5
	v_cmp_eq_u32_e64 s[8:9], 0, v5
	s_waitcnt lgkmcnt(1)
	v_cmp_eq_u32_e64 s[12:13], v4, v13
	s_and_b64 s[12:13], s[12:13], s[8:9]
	s_waitcnt lgkmcnt(0)
	v_cmp_ne_u32_e64 s[8:9], 0, v7
	v_cmp_lt_i32_e64 s[10:11], v4, v13
	;; [unrolled: 17-line block ×4, first 2 shown]
	v_cndmask_b32_e64 v7, 0, 1, s[8:9]
	s_and_b64 s[8:9], s[8:9], s[12:13]
	s_or_b64 s[8:9], s[10:11], s[8:9]
	v_cndmask_b32_e64 v14, 0, 1, s[8:9]
	v_cmp_eq_u32_e64 s[8:9], v10, v14
	v_cndmask_b32_e64 v4, v4, v13, s[8:9]
	v_cndmask_b32_e64 v5, v5, v7, s[8:9]
	v_and_b32_e32 v5, 0xff, v5
	ds_bpermute_b32 v10, v1, v4
	ds_bpermute_b32 v7, v1, v5
	v_cmp_eq_u32_e64 s[14:15], 0, v5
	s_waitcnt lgkmcnt(1)
	v_cmp_eq_u32_e64 s[12:13], v4, v10
	s_waitcnt lgkmcnt(0)
	v_cmp_ne_u32_e64 s[8:9], 0, v7
	s_and_b64 s[12:13], s[12:13], s[14:15]
	v_cndmask_b32_e64 v7, 0, 1, s[8:9]
	v_cmp_lt_i32_e64 s[10:11], v4, v10
	s_and_b64 s[8:9], s[8:9], s[12:13]
	s_or_b64 s[8:9], s[10:11], s[8:9]
	v_cndmask_b32_e64 v13, 0, 1, s[8:9]
	v_cmp_eq_u32_e64 s[8:9], v8, v13
	v_cndmask_b32_e64 v4, v4, v10, s[8:9]
	v_cndmask_b32_e64 v5, v5, v7, s[8:9]
	v_and_b32_e32 v5, 0xff, v5
	ds_bpermute_b32 v8, v6, v4
	ds_bpermute_b32 v7, v6, v5
	v_cmp_eq_u32_e64 s[14:15], 0, v5
	s_waitcnt lgkmcnt(1)
	v_cmp_eq_u32_e64 s[12:13], v4, v8
	s_waitcnt lgkmcnt(0)
	v_cmp_ne_u32_e64 s[8:9], 0, v7
	s_and_b64 s[12:13], s[12:13], s[14:15]
	v_cndmask_b32_e64 v7, 0, 1, s[8:9]
	v_cmp_lt_i32_e64 s[10:11], v4, v8
	;; [unrolled: 17-line block ×6, first 2 shown]
	s_and_b64 s[8:9], s[8:9], s[12:13]
	s_or_b64 s[8:9], s[10:11], s[8:9]
	s_xor_b64 s[6:7], s[8:9], s[6:7]
	v_cndmask_b32_e64 v5, v7, v5, s[6:7]
	v_cndmask_b32_e64 v4, v8, v4, s[6:7]
	v_and_b32_e32 v5, 0xff, v5
	ds_bpermute_b32 v7, v6, v5
	ds_bpermute_b32 v6, v6, v4
	v_cmp_eq_u32_e64 s[12:13], 0, v5
	s_waitcnt lgkmcnt(1)
	v_cmp_ne_u32_e64 s[6:7], 0, v7
	s_waitcnt lgkmcnt(0)
	v_cmp_eq_u32_e64 s[10:11], v4, v6
	s_and_b64 s[10:11], s[10:11], s[12:13]
	v_cndmask_b32_e64 v7, 0, 1, s[6:7]
	v_cmp_lt_i32_e64 s[8:9], v4, v6
	s_and_b64 s[6:7], s[6:7], s[10:11]
	s_or_b64 s[6:7], s[8:9], s[6:7]
	s_xor_b64 s[4:5], s[6:7], s[4:5]
	v_cndmask_b32_e64 v5, v7, v5, s[4:5]
	v_cndmask_b32_e64 v4, v6, v4, s[4:5]
	v_and_b32_e32 v5, 0xff, v5
	ds_bpermute_b32 v6, v3, v5
	ds_bpermute_b32 v3, v3, v4
	v_cmp_eq_u32_e64 s[10:11], 0, v5
	s_waitcnt lgkmcnt(1)
	v_cmp_ne_u32_e64 s[4:5], 0, v6
	s_waitcnt lgkmcnt(0)
	v_cmp_eq_u32_e64 s[8:9], v4, v3
	s_and_b64 s[8:9], s[8:9], s[10:11]
	v_cndmask_b32_e64 v6, 0, 1, s[4:5]
	v_cmp_lt_i32_e64 s[6:7], v4, v3
	;; [unrolled: 16-line block ×4, first 2 shown]
	s_and_b64 s[0:1], s[0:1], s[4:5]
	s_or_b64 s[0:1], s[2:3], s[0:1]
	s_xor_b64 vcc, s[0:1], vcc
	v_cndmask_b32_e32 v1, v4, v3, vcc
	v_and_b32_e32 v1, 1, v1
	v_cmp_ne_u32_e64 s[0:1], 0, v1
	v_cmp_eq_u32_e32 vcc, 0, v0
	s_and_saveexec_b64 s[2:3], vcc
	s_cbranch_execz .LBB1_2
; %bb.1:
	s_getpc_b64 s[2:3]
	s_add_u32 s2, s2, duplicateMask@rel32@lo+4
	s_addc_u32 s3, s3, duplicateMask@rel32@hi+12
	v_mov_b32_e32 v0, 0
	v_mov_b32_e32 v1, s0
	global_store_dword v0, v1, s[2:3]
.LBB1_2:
	s_endpgm
	.section	.rodata,"a",@progbits
	.p2align	6, 0x0
	.amdhsa_kernel _Z18checkDuplicateMaskiPKi
		.amdhsa_group_segment_fixed_size 0
		.amdhsa_private_segment_fixed_size 0
		.amdhsa_kernarg_size 16
		.amdhsa_user_sgpr_count 6
		.amdhsa_user_sgpr_private_segment_buffer 1
		.amdhsa_user_sgpr_dispatch_ptr 0
		.amdhsa_user_sgpr_queue_ptr 0
		.amdhsa_user_sgpr_kernarg_segment_ptr 1
		.amdhsa_user_sgpr_dispatch_id 0
		.amdhsa_user_sgpr_flat_scratch_init 0
		.amdhsa_user_sgpr_kernarg_preload_length 0
		.amdhsa_user_sgpr_kernarg_preload_offset 0
		.amdhsa_user_sgpr_private_segment_size 0
		.amdhsa_uses_dynamic_stack 0
		.amdhsa_system_sgpr_private_segment_wavefront_offset 0
		.amdhsa_system_sgpr_workgroup_id_x 1
		.amdhsa_system_sgpr_workgroup_id_y 0
		.amdhsa_system_sgpr_workgroup_id_z 0
		.amdhsa_system_sgpr_workgroup_info 0
		.amdhsa_system_vgpr_workitem_id 0
		.amdhsa_next_free_vgpr 28
		.amdhsa_next_free_sgpr 16
		.amdhsa_accum_offset 28
		.amdhsa_reserve_vcc 1
		.amdhsa_reserve_flat_scratch 0
		.amdhsa_float_round_mode_32 0
		.amdhsa_float_round_mode_16_64 0
		.amdhsa_float_denorm_mode_32 3
		.amdhsa_float_denorm_mode_16_64 3
		.amdhsa_dx10_clamp 1
		.amdhsa_ieee_mode 1
		.amdhsa_fp16_overflow 0
		.amdhsa_tg_split 0
		.amdhsa_exception_fp_ieee_invalid_op 0
		.amdhsa_exception_fp_denorm_src 0
		.amdhsa_exception_fp_ieee_div_zero 0
		.amdhsa_exception_fp_ieee_overflow 0
		.amdhsa_exception_fp_ieee_underflow 0
		.amdhsa_exception_fp_ieee_inexact 0
		.amdhsa_exception_int_div_zero 0
	.end_amdhsa_kernel
	.text
.Lfunc_end1:
	.size	_Z18checkDuplicateMaskiPKi, .Lfunc_end1-_Z18checkDuplicateMaskiPKi
                                        ; -- End function
	.section	.AMDGPU.csdata,"",@progbits
; Kernel info:
; codeLenInByte = 3132
; NumSgprs: 20
; NumVgprs: 28
; NumAgprs: 0
; TotalNumVgprs: 28
; ScratchSize: 0
; MemoryBound: 0
; FloatMode: 240
; IeeeMode: 1
; LDSByteSize: 0 bytes/workgroup (compile time only)
; SGPRBlocks: 2
; VGPRBlocks: 3
; NumSGPRsForWavesPerEU: 20
; NumVGPRsForWavesPerEU: 28
; AccumOffset: 28
; Occupancy: 8
; WaveLimiterHint : 0
; COMPUTE_PGM_RSRC2:SCRATCH_EN: 0
; COMPUTE_PGM_RSRC2:USER_SGPR: 6
; COMPUTE_PGM_RSRC2:TRAP_HANDLER: 0
; COMPUTE_PGM_RSRC2:TGID_X_EN: 1
; COMPUTE_PGM_RSRC2:TGID_Y_EN: 0
; COMPUTE_PGM_RSRC2:TGID_Z_EN: 0
; COMPUTE_PGM_RSRC2:TIDIG_COMP_CNT: 0
; COMPUTE_PGM_RSRC3_GFX90A:ACCUM_OFFSET: 6
; COMPUTE_PGM_RSRC3_GFX90A:TG_SPLIT: 0
	.text
	.p2alignl 6, 3212836864
	.fill 256, 4, 3212836864
	.protected	hasDuplicate            ; @hasDuplicate
	.type	hasDuplicate,@object
	.section	.bss,"aw",@nobits
	.globl	hasDuplicate
	.p2align	4, 0x0
hasDuplicate:
	.zero	128
	.size	hasDuplicate, 128

	.protected	duplicateMask           ; @duplicateMask
	.type	duplicateMask,@object
	.globl	duplicateMask
	.p2align	2, 0x0
duplicateMask:
	.long	0                               ; 0x0
	.size	duplicateMask, 4

	.type	__hip_cuid_eda29f6967e3a8b0,@object ; @__hip_cuid_eda29f6967e3a8b0
	.globl	__hip_cuid_eda29f6967e3a8b0
__hip_cuid_eda29f6967e3a8b0:
	.byte	0                               ; 0x0
	.size	__hip_cuid_eda29f6967e3a8b0, 1

	.ident	"AMD clang version 19.0.0git (https://github.com/RadeonOpenCompute/llvm-project roc-6.4.0 25133 c7fe45cf4b819c5991fe208aaa96edf142730f1d)"
	.section	".note.GNU-stack","",@progbits
	.addrsig
	.addrsig_sym hasDuplicate
	.addrsig_sym duplicateMask
	.addrsig_sym __hip_cuid_eda29f6967e3a8b0
	.amdgpu_metadata
---
amdhsa.kernels:
  - .agpr_count:     0
    .args:
      - .offset:         0
        .size:           4
        .value_kind:     by_value
      - .address_space:  global
        .offset:         8
        .size:           8
        .value_kind:     global_buffer
    .group_segment_fixed_size: 0
    .kernarg_segment_align: 8
    .kernarg_segment_size: 16
    .language:       OpenCL C
    .language_version:
      - 2
      - 0
    .max_flat_workgroup_size: 1024
    .name:           _Z15checkDuplicatesiPKi
    .private_segment_fixed_size: 0
    .sgpr_count:     10
    .sgpr_spill_count: 0
    .symbol:         _Z15checkDuplicatesiPKi.kd
    .uniform_work_group_size: 1
    .uses_dynamic_stack: false
    .vgpr_count:     16
    .vgpr_spill_count: 0
    .wavefront_size: 64
  - .agpr_count:     0
    .args:
      - .offset:         0
        .size:           4
        .value_kind:     by_value
      - .address_space:  global
        .offset:         8
        .size:           8
        .value_kind:     global_buffer
    .group_segment_fixed_size: 0
    .kernarg_segment_align: 8
    .kernarg_segment_size: 16
    .language:       OpenCL C
    .language_version:
      - 2
      - 0
    .max_flat_workgroup_size: 1024
    .name:           _Z18checkDuplicateMaskiPKi
    .private_segment_fixed_size: 0
    .sgpr_count:     20
    .sgpr_spill_count: 0
    .symbol:         _Z18checkDuplicateMaskiPKi.kd
    .uniform_work_group_size: 1
    .uses_dynamic_stack: false
    .vgpr_count:     28
    .vgpr_spill_count: 0
    .wavefront_size: 64
amdhsa.target:   amdgcn-amd-amdhsa--gfx90a
amdhsa.version:
  - 1
  - 2
...

	.end_amdgpu_metadata
